;; amdgpu-corpus repo=ROCm/rocFFT kind=compiled arch=gfx950 opt=O3
	.text
	.amdgcn_target "amdgcn-amd-amdhsa--gfx950"
	.amdhsa_code_object_version 6
	.protected	bluestein_single_fwd_len875_dim1_sp_op_CI_CI ; -- Begin function bluestein_single_fwd_len875_dim1_sp_op_CI_CI
	.globl	bluestein_single_fwd_len875_dim1_sp_op_CI_CI
	.p2align	8
	.type	bluestein_single_fwd_len875_dim1_sp_op_CI_CI,@function
bluestein_single_fwd_len875_dim1_sp_op_CI_CI: ; @bluestein_single_fwd_len875_dim1_sp_op_CI_CI
; %bb.0:
	s_load_dwordx4 s[8:11], s[0:1], 0x28
	v_mul_u32_u24_e32 v1, 0x177, v0
	v_add_u32_sdwa v38, s2, v1 dst_sel:DWORD dst_unused:UNUSED_PAD src0_sel:DWORD src1_sel:WORD_1
	v_mov_b32_e32 v39, 0
	s_waitcnt lgkmcnt(0)
	v_cmp_gt_u64_e32 vcc, s[8:9], v[38:39]
	s_and_saveexec_b64 s[2:3], vcc
	s_cbranch_execz .LBB0_15
; %bb.1:
	s_load_dwordx2 s[8:9], s[0:1], 0x0
	s_load_dwordx2 s[12:13], s[0:1], 0x38
	s_movk_i32 s2, 0xaf
	v_mul_lo_u16_sdwa v1, v1, s2 dst_sel:DWORD dst_unused:UNUSED_PAD src0_sel:WORD_1 src1_sel:DWORD
	v_sub_u16_e32 v39, v0, v1
	s_movk_i32 s2, 0x7d
	v_cmp_gt_u16_e64 s[2:3], s2, v39
	v_lshlrev_b32_e32 v36, 3, v39
	s_and_saveexec_b64 s[14:15], s[2:3]
	s_cbranch_execz .LBB0_3
; %bb.2:
	s_load_dwordx2 s[4:5], s[0:1], 0x18
	v_mov_b32_e32 v0, s10
	v_mov_b32_e32 v1, s11
	;; [unrolled: 1-line block ×4, first 2 shown]
	s_waitcnt lgkmcnt(0)
	s_load_dwordx4 s[4:7], s[4:5], 0x0
	s_waitcnt lgkmcnt(0)
	v_mad_u64_u32 v[2:3], s[10:11], s6, v38, 0
	v_mad_u64_u32 v[4:5], s[10:11], s4, v39, 0
	v_mov_b32_e32 v6, v3
	v_mov_b32_e32 v8, v5
	v_mad_u64_u32 v[6:7], s[6:7], s7, v38, v[6:7]
	v_mov_b32_e32 v3, v6
	v_mad_u64_u32 v[6:7], s[6:7], s5, v39, v[8:9]
	v_mov_b32_e32 v5, v6
	v_lshl_add_u64 v[0:1], v[2:3], 3, v[0:1]
	v_lshl_add_u64 v[0:1], v[4:5], 3, v[0:1]
	global_load_dwordx2 v[2:3], v[0:1], off
	v_mad_u64_u32 v[0:1], s[6:7], s4, v28, v[0:1]
	s_mul_i32 s10, s5, 0x3e8
	v_add_u32_e32 v1, s10, v1
	v_mad_u64_u32 v[10:11], s[6:7], s4, v28, v[0:1]
	v_add_u32_e32 v11, s10, v11
	v_mad_u64_u32 v[14:15], s[6:7], s4, v28, v[10:11]
	v_add_u32_e32 v15, s10, v15
	global_load_dwordx2 v[6:7], v36, s[8:9]
	global_load_dwordx2 v[8:9], v36, s[8:9] offset:1000
	v_mad_u64_u32 v[16:17], s[6:7], s4, v28, v[14:15]
	global_load_dwordx2 v[0:1], v[0:1], off
	v_lshl_add_u64 v[4:5], s[8:9], 0, v[36:37]
	v_add_u32_e32 v17, s10, v17
	s_movk_i32 s5, 0x1000
	global_load_dwordx2 v[12:13], v36, s[8:9] offset:2000
	global_load_dwordx2 v[18:19], v[10:11], off
	global_load_dwordx2 v[20:21], v[14:15], off
	;; [unrolled: 1-line block ×3, first 2 shown]
	global_load_dwordx2 v[24:25], v36, s[8:9] offset:3000
	global_load_dwordx2 v[26:27], v36, s[8:9] offset:4000
	v_mad_u64_u32 v[10:11], s[6:7], s4, v28, v[16:17]
	v_add_co_u32_e32 v4, vcc, s5, v4
	v_add_u32_e32 v11, s10, v11
	s_nop 0
	v_addc_co_u32_e32 v5, vcc, 0, v5, vcc
	global_load_dwordx2 v[14:15], v[10:11], off
	global_load_dwordx2 v[16:17], v[4:5], off offset:904
	v_mad_u64_u32 v[10:11], s[4:5], s4, v28, v[10:11]
	v_add_u32_e32 v11, s10, v11
	global_load_dwordx2 v[28:29], v[4:5], off offset:1904
	global_load_dwordx2 v[30:31], v[10:11], off
	v_add_u32_e32 v10, 0x400, v36
	v_add_u32_e32 v11, 0xc00, v36
	s_waitcnt vmcnt(12)
	v_mul_f32_e32 v4, v3, v7
	v_mul_f32_e32 v5, v2, v7
	v_fmac_f32_e32 v4, v2, v6
	v_fma_f32 v5, v3, v6, -v5
	s_waitcnt vmcnt(10)
	v_mul_f32_e32 v2, v1, v9
	v_mul_f32_e32 v3, v0, v9
	v_fmac_f32_e32 v2, v0, v8
	v_fma_f32 v3, v1, v8, -v3
	ds_write2_b64 v36, v[4:5], v[2:3] offset1:125
	s_waitcnt vmcnt(8)
	v_mul_f32_e32 v0, v19, v13
	v_mul_f32_e32 v1, v18, v13
	s_waitcnt vmcnt(5)
	v_mul_f32_e32 v2, v21, v25
	v_mul_f32_e32 v3, v20, v25
	v_fmac_f32_e32 v0, v18, v12
	v_fma_f32 v1, v19, v12, -v1
	v_fmac_f32_e32 v2, v20, v24
	v_fma_f32 v3, v21, v24, -v3
	ds_write2_b64 v10, v[0:1], v[2:3] offset0:122 offset1:247
	s_waitcnt vmcnt(4)
	v_mul_f32_e32 v0, v23, v27
	v_mul_f32_e32 v1, v22, v27
	s_waitcnt vmcnt(2)
	v_mul_f32_e32 v2, v15, v17
	v_mul_f32_e32 v3, v14, v17
	v_fmac_f32_e32 v0, v22, v26
	v_fma_f32 v1, v23, v26, -v1
	v_fmac_f32_e32 v2, v14, v16
	v_fma_f32 v3, v15, v16, -v3
	ds_write2_b64 v11, v[0:1], v[2:3] offset0:116 offset1:241
	s_waitcnt vmcnt(0)
	v_mul_f32_e32 v0, v31, v29
	v_mul_f32_e32 v1, v30, v29
	v_fmac_f32_e32 v0, v30, v28
	v_fma_f32 v1, v31, v28, -v1
	ds_write_b64 v36, v[0:1] offset:6000
.LBB0_3:
	s_or_b64 exec, exec, s[14:15]
	s_load_dwordx2 s[4:5], s[0:1], 0x20
	s_load_dwordx2 s[10:11], s[0:1], 0x8
	v_mov_b64_e32 v[0:1], 0
	v_mov_b32_e32 v2, 0
	v_mov_b32_e32 v3, 0
	;; [unrolled: 1-line block ×6, first 2 shown]
	s_waitcnt lgkmcnt(0)
	s_barrier
	s_waitcnt lgkmcnt(0)
                                        ; implicit-def: $vgpr12
	s_and_saveexec_b64 s[0:1], s[2:3]
	s_cbranch_execz .LBB0_5
; %bb.4:
	v_add_u32_e32 v4, 0x400, v36
	v_add_u32_e32 v8, 0xc00, v36
	ds_read2_b64 v[0:3], v36 offset1:125
	ds_read2_b64 v[4:7], v4 offset0:122 offset1:247
	ds_read2_b64 v[8:11], v8 offset0:116 offset1:241
	ds_read_b64 v[12:13], v36 offset:6000
.LBB0_5:
	s_or_b64 exec, exec, s[0:1]
	s_waitcnt lgkmcnt(0)
	v_pk_add_f32 v[14:15], v[12:13], v[2:3]
	v_pk_add_f32 v[12:13], v[2:3], v[12:13] neg_lo:[0,1] neg_hi:[0,1]
	v_pk_add_f32 v[16:17], v[10:11], v[4:5]
	v_pk_add_f32 v[10:11], v[4:5], v[10:11] neg_lo:[0,1] neg_hi:[0,1]
	;; [unrolled: 2-line block ×4, first 2 shown]
	v_pk_add_f32 v[8:9], v[14:15], v[18:19] neg_lo:[0,1] neg_hi:[0,1]
	v_pk_add_f32 v[14:15], v[10:11], v[6:7] op_sel:[1,1] op_sel_hi:[0,0]
	v_pk_add_f32 v[20:21], v[12:13], v[6:7] op_sel:[1,1] op_sel_hi:[0,0] neg_lo:[0,1] neg_hi:[0,1]
	v_pk_add_f32 v[6:7], v[6:7], v[10:11] op_sel:[1,1] op_sel_hi:[0,0] neg_lo:[0,1] neg_hi:[0,1]
	s_mov_b32 s20, 0xbf08b237
	v_pk_add_f32 v[22:23], v[10:11], v[12:13] op_sel:[1,1] op_sel_hi:[0,0] neg_lo:[0,1] neg_hi:[0,1]
	v_pk_add_f32 v[24:25], v[4:5], v[18:19]
	s_mov_b32 s6, 0x3f4a47b2
	v_pk_mul_f32 v[6:7], v[6:7], s[20:21] op_sel_hi:[1,0]
	s_mov_b32 s20, 0x3f5ff5aa
	v_pk_add_f32 v[4:5], v[12:13], v[14:15] op_sel:[1,0] op_sel_hi:[0,1]
	v_pk_add_f32 v[0:1], v[24:25], v[0:1]
	s_mov_b32 s0, 0xbf955555
	v_pk_mul_f32 v[12:13], v[8:9], s[6:7] op_sel_hi:[1,0]
	s_mov_b32 s6, 0x3f3bfb3b
	s_mov_b32 s18, 0x3eae86e6
	v_pk_add_f32 v[18:19], v[18:19], v[16:17] neg_lo:[0,1] neg_hi:[0,1]
	s_mov_b32 s16, 0x3d64c772
	v_pk_mul_f32 v[14:15], v[22:23], s[20:21] op_sel_hi:[1,0]
	s_mov_b32 s14, 0x3ee1c552
	v_pk_fma_f32 v[8:9], v[24:25], s[0:1], v[0:1] op_sel_hi:[1,0,1]
	v_pk_fma_f32 v[10:11], v[18:19], s[16:17], v[12:13] op_sel_hi:[1,0,1]
	v_pk_fma_f32 v[12:13], v[2:3], s[6:7], v[12:13] op_sel_hi:[1,0,1] neg_lo:[1,0,1] neg_hi:[1,0,1]
	v_pk_fma_f32 v[16:17], v[20:21], s[18:19], v[6:7] op_sel_hi:[1,0,1]
	v_pk_fma_f32 v[20:21], v[20:21], s[18:19], v[14:15] op_sel_hi:[1,0,1] neg_lo:[1,0,1] neg_hi:[1,0,1]
	v_pk_add_f32 v[22:23], v[10:11], v[8:9]
	v_pk_add_f32 v[10:11], v[12:13], v[8:9]
	v_pk_fma_f32 v[24:25], v[4:5], s[14:15], v[16:17] op_sel_hi:[1,0,1]
	v_pk_fma_f32 v[12:13], v[4:5], s[14:15], v[20:21] op_sel_hi:[1,0,1]
	v_pk_add_f32 v[20:21], v[22:23], v[24:25] neg_lo:[0,1] neg_hi:[0,1]
	v_pk_add_f32 v[16:17], v[10:11], v[12:13] neg_lo:[0,1] neg_hi:[0,1]
	v_pk_add_f32 v[12:13], v[10:11], v[12:13]
	v_pk_add_f32 v[22:23], v[22:23], v[24:25]
	v_mov_b32_e32 v10, v16
	v_mov_b32_e32 v11, v13
	;; [unrolled: 1-line block ×4, first 2 shown]
	v_mul_lo_u16_e32 v67, 7, v39
	s_barrier
	s_and_saveexec_b64 s[0:1], s[2:3]
	s_cbranch_execz .LBB0_7
; %bb.6:
	v_pk_mul_f32 v[2:3], v[2:3], s[6:7] op_sel_hi:[1,0]
	v_pk_mul_f32 v[18:19], v[18:19], s[16:17] op_sel_hi:[1,0]
	v_lshlrev_b32_e32 v16, 3, v67
	v_mov_b32_e32 v23, v21
	v_pk_mul_f32 v[4:5], v[4:5], s[14:15] op_sel_hi:[1,0]
	ds_write2_b64 v16, v[0:1], v[22:23] offset1:1
	v_pk_add_f32 v[0:1], v[14:15], v[6:7] neg_lo:[0,1] neg_hi:[0,1]
	v_pk_add_f32 v[2:3], v[2:3], v[18:19] neg_lo:[0,1] neg_hi:[0,1]
	v_pk_add_f32 v[0:1], v[0:1], v[4:5]
	v_pk_add_f32 v[2:3], v[2:3], v[8:9]
	v_mov_b32_e32 v13, v17
	v_pk_add_f32 v[4:5], v[2:3], v[0:1] neg_lo:[0,1] neg_hi:[0,1]
	v_pk_add_f32 v[0:1], v[2:3], v[0:1]
	v_mov_b32_e32 v2, v4
	v_mov_b32_e32 v3, v1
	;; [unrolled: 1-line block ×3, first 2 shown]
	ds_write2_b64 v16, v[12:13], v[2:3] offset0:2 offset1:3
	ds_write2_b64 v16, v[0:1], v[10:11] offset0:4 offset1:5
	ds_write_b64 v16, v[40:41] offset:48
.LBB0_7:
	s_or_b64 exec, exec, s[0:1]
	v_mov_b32_e32 v0, 37
	v_mul_lo_u16_sdwa v0, v39, v0 dst_sel:DWORD dst_unused:UNUSED_PAD src0_sel:BYTE_0 src1_sel:DWORD
	v_sub_u16_sdwa v1, v39, v0 dst_sel:DWORD dst_unused:UNUSED_PAD src0_sel:DWORD src1_sel:BYTE_1
	v_lshrrev_b16_e32 v1, 1, v1
	v_and_b32_e32 v1, 0x7f, v1
	v_add_u16_sdwa v0, v1, v0 dst_sel:DWORD dst_unused:UNUSED_PAD src0_sel:DWORD src1_sel:BYTE_1
	v_lshrrev_b16_e32 v20, 2, v0
	v_mul_lo_u16_e32 v0, 7, v20
	v_sub_u16_e32 v0, v39, v0
	v_and_b32_e32 v21, 0xff, v0
	v_lshlrev_b32_e32 v8, 5, v21
	s_load_dwordx4 s[4:7], s[4:5], 0x0
	s_waitcnt lgkmcnt(0)
	s_barrier
	global_load_dwordx4 v[4:7], v8, s[10:11]
	global_load_dwordx4 v[0:3], v8, s[10:11] offset:16
	v_add_u32_e32 v37, 0xa00, v36
	ds_read2_b64 v[12:15], v36 offset1:175
	s_movk_i32 s1, 0xeb
	ds_read2_b64 v[16:19], v37 offset0:30 offset1:205
	ds_read_b64 v[8:9], v36 offset:5600
	v_mul_lo_u16_sdwa v22, v39, s1 dst_sel:DWORD dst_unused:UNUSED_PAD src0_sel:BYTE_0 src1_sel:DWORD
	v_lshrrev_b16_e32 v42, 13, v22
	v_mul_lo_u16_e32 v22, 35, v42
	v_sub_u16_e32 v22, v39, v22
	v_mul_u32_u24_e32 v20, 35, v20
	v_and_b32_e32 v43, 0xff, v22
	v_add_lshl_u32 v66, v20, v21, 3
	s_mov_b32 s14, 0x3f737871
	s_mov_b32 s16, 0x3f167918
	;; [unrolled: 1-line block ×3, first 2 shown]
	v_lshlrev_b32_e32 v44, 5, v43
	s_waitcnt lgkmcnt(0)
	s_barrier
	v_lshlrev_b32_e32 v50, 5, v39
	s_waitcnt vmcnt(1)
	v_pk_mul_f32 v[20:21], v[14:15], v[4:5] op_sel:[0,1]
	v_mov_b32_e32 v22, v7
	s_waitcnt vmcnt(0)
	v_pk_mul_f32 v[24:25], v[18:19], v[0:1] op_sel:[0,1]
	v_mov_b32_e32 v26, v3
	v_pk_fma_f32 v[28:29], v[14:15], v[4:5], v[20:21] op_sel:[0,0,1] op_sel_hi:[1,1,0] neg_lo:[0,0,1] neg_hi:[0,0,1]
	v_pk_fma_f32 v[14:15], v[14:15], v[4:5], v[20:21] op_sel:[0,0,1] op_sel_hi:[1,0,0]
	v_pk_mul_f32 v[20:21], v[16:17], v[22:23] op_sel_hi:[1,0]
	v_pk_fma_f32 v[22:23], v[18:19], v[0:1], v[24:25] op_sel:[0,0,1] op_sel_hi:[1,1,0] neg_lo:[0,0,1] neg_hi:[0,0,1]
	v_pk_fma_f32 v[18:19], v[18:19], v[0:1], v[24:25] op_sel:[0,0,1] op_sel_hi:[1,0,0]
	v_pk_mul_f32 v[24:25], v[8:9], v[26:27] op_sel_hi:[1,0]
	v_mov_b32_e32 v29, v15
	v_pk_fma_f32 v[14:15], v[16:17], v[6:7], v[20:21] op_sel:[0,0,1] op_sel_hi:[1,1,0] neg_lo:[0,0,1] neg_hi:[0,0,1]
	v_pk_fma_f32 v[16:17], v[16:17], v[6:7], v[20:21] op_sel:[0,0,1] op_sel_hi:[1,0,0]
	v_mov_b32_e32 v23, v19
	v_pk_fma_f32 v[18:19], v[8:9], v[2:3], v[24:25] op_sel:[0,0,1] op_sel_hi:[1,1,0] neg_lo:[0,0,1] neg_hi:[0,0,1]
	v_pk_fma_f32 v[8:9], v[8:9], v[2:3], v[24:25] op_sel:[0,0,1] op_sel_hi:[1,0,0]
	v_mov_b32_e32 v15, v17
	v_mov_b32_e32 v19, v9
	v_pk_add_f32 v[8:9], v[12:13], v[28:29]
	v_pk_add_f32 v[16:17], v[14:15], v[22:23]
	;; [unrolled: 1-line block ×3, first 2 shown]
	v_pk_add_f32 v[20:21], v[28:29], v[18:19] neg_lo:[0,1] neg_hi:[0,1]
	v_pk_add_f32 v[24:25], v[14:15], v[22:23] neg_lo:[0,1] neg_hi:[0,1]
	v_pk_add_f32 v[32:33], v[28:29], v[18:19]
	v_pk_add_f32 v[26:27], v[28:29], v[14:15] neg_lo:[0,1] neg_hi:[0,1]
	v_pk_add_f32 v[30:31], v[18:19], v[22:23] neg_lo:[0,1] neg_hi:[0,1]
	;; [unrolled: 1-line block ×4, first 2 shown]
	v_pk_add_f32 v[8:9], v[8:9], v[22:23]
	v_pk_fma_f32 v[16:17], v[16:17], 0.5, v[12:13] op_sel_hi:[1,0,1] neg_lo:[1,0,0] neg_hi:[1,0,0]
	v_pk_mul_f32 v[22:23], v[20:21], s[14:15] op_sel_hi:[1,0]
	v_pk_mul_f32 v[34:35], v[24:25], s[16:17] op_sel_hi:[1,0]
	v_pk_fma_f32 v[12:13], v[32:33], 0.5, v[12:13] op_sel_hi:[1,0,1] neg_lo:[1,0,0] neg_hi:[1,0,0]
	v_pk_mul_f32 v[24:25], v[24:25], s[14:15] op_sel_hi:[1,0]
	v_pk_mul_f32 v[20:21], v[20:21], s[16:17] op_sel_hi:[1,0]
	v_pk_add_f32 v[8:9], v[8:9], v[18:19]
	v_pk_add_f32 v[18:19], v[16:17], v[22:23] op_sel:[0,1] op_sel_hi:[1,0]
	v_pk_add_f32 v[16:17], v[16:17], v[22:23] op_sel:[0,1] op_sel_hi:[1,0] neg_lo:[0,1] neg_hi:[0,1]
	v_pk_add_f32 v[22:23], v[12:13], v[24:25] op_sel:[0,1] op_sel_hi:[1,0] neg_lo:[0,1] neg_hi:[0,1]
	v_pk_add_f32 v[12:13], v[12:13], v[24:25] op_sel:[0,1] op_sel_hi:[1,0]
	v_pk_add_f32 v[16:17], v[16:17], v[34:35] op_sel:[0,1] op_sel_hi:[1,0] neg_lo:[0,1] neg_hi:[0,1]
	v_pk_add_f32 v[18:19], v[18:19], v[34:35] op_sel:[0,1] op_sel_hi:[1,0]
	;; [unrolled: 2-line block ×3, first 2 shown]
	v_pk_add_f32 v[26:27], v[26:27], v[30:31]
	v_pk_add_f32 v[14:15], v[14:15], v[28:29]
	v_mov_b32_e32 v22, v18
	v_mov_b32_e32 v23, v17
	;; [unrolled: 1-line block ×6, first 2 shown]
	v_pk_fma_f32 v[18:19], v[26:27], s[0:1], v[22:23] op_sel_hi:[1,0,1]
	v_pk_fma_f32 v[20:21], v[14:15], s[0:1], v[24:25] op_sel_hi:[1,0,1]
	;; [unrolled: 1-line block ×4, first 2 shown]
	ds_write2_b64 v66, v[8:9], v[18:19] offset1:7
	ds_write2_b64 v66, v[20:21], v[12:13] offset0:14 offset1:21
	ds_write_b64 v66, v[14:15] offset:224
	s_waitcnt lgkmcnt(0)
	s_barrier
	global_load_dwordx4 v[16:19], v44, s[10:11] offset:224
	global_load_dwordx4 v[12:15], v44, s[10:11] offset:240
	v_mul_u32_u24_e32 v8, 0xaf, v42
	v_add_lshl_u32 v68, v8, v43, 3
	ds_read2_b64 v[20:23], v36 offset1:175
	ds_read2_b64 v[24:27], v37 offset0:30 offset1:205
	ds_read_b64 v[8:9], v36 offset:5600
	s_waitcnt lgkmcnt(0)
	s_barrier
	s_waitcnt vmcnt(1)
	v_pk_mul_f32 v[28:29], v[22:23], v[16:17] op_sel:[0,1]
	v_mov_b32_e32 v30, v19
	s_waitcnt vmcnt(0)
	v_pk_mul_f32 v[32:33], v[26:27], v[12:13] op_sel:[0,1]
	v_mov_b32_e32 v34, v15
	v_pk_fma_f32 v[42:43], v[22:23], v[16:17], v[28:29] op_sel:[0,0,1] op_sel_hi:[1,1,0] neg_lo:[0,0,1] neg_hi:[0,0,1]
	v_pk_fma_f32 v[22:23], v[22:23], v[16:17], v[28:29] op_sel:[0,0,1] op_sel_hi:[1,0,0]
	v_pk_mul_f32 v[28:29], v[24:25], v[30:31] op_sel_hi:[1,0]
	v_pk_fma_f32 v[30:31], v[26:27], v[12:13], v[32:33] op_sel:[0,0,1] op_sel_hi:[1,1,0] neg_lo:[0,0,1] neg_hi:[0,0,1]
	v_pk_fma_f32 v[26:27], v[26:27], v[12:13], v[32:33] op_sel:[0,0,1] op_sel_hi:[1,0,0]
	v_pk_mul_f32 v[32:33], v[8:9], v[34:35] op_sel_hi:[1,0]
	v_mov_b32_e32 v43, v23
	v_pk_fma_f32 v[22:23], v[24:25], v[18:19], v[28:29] op_sel:[0,0,1] op_sel_hi:[1,1,0] neg_lo:[0,0,1] neg_hi:[0,0,1]
	v_pk_fma_f32 v[24:25], v[24:25], v[18:19], v[28:29] op_sel:[0,0,1] op_sel_hi:[1,0,0]
	v_mov_b32_e32 v31, v27
	v_pk_fma_f32 v[26:27], v[8:9], v[14:15], v[32:33] op_sel:[0,0,1] op_sel_hi:[1,1,0] neg_lo:[0,0,1] neg_hi:[0,0,1]
	v_pk_fma_f32 v[8:9], v[8:9], v[14:15], v[32:33] op_sel:[0,0,1] op_sel_hi:[1,0,0]
	v_mov_b32_e32 v23, v25
	v_mov_b32_e32 v27, v9
	v_pk_add_f32 v[8:9], v[20:21], v[42:43]
	v_pk_add_f32 v[24:25], v[22:23], v[30:31]
	;; [unrolled: 1-line block ×3, first 2 shown]
	v_pk_add_f32 v[28:29], v[42:43], v[26:27] neg_lo:[0,1] neg_hi:[0,1]
	v_pk_add_f32 v[32:33], v[22:23], v[30:31] neg_lo:[0,1] neg_hi:[0,1]
	v_pk_add_f32 v[46:47], v[42:43], v[26:27]
	v_pk_add_f32 v[34:35], v[42:43], v[22:23] neg_lo:[0,1] neg_hi:[0,1]
	v_pk_add_f32 v[44:45], v[26:27], v[30:31] neg_lo:[0,1] neg_hi:[0,1]
	;; [unrolled: 1-line block ×4, first 2 shown]
	v_pk_add_f32 v[8:9], v[8:9], v[30:31]
	v_pk_fma_f32 v[24:25], v[24:25], 0.5, v[20:21] op_sel_hi:[1,0,1] neg_lo:[1,0,0] neg_hi:[1,0,0]
	v_pk_mul_f32 v[30:31], v[28:29], s[14:15] op_sel_hi:[1,0]
	v_pk_mul_f32 v[48:49], v[32:33], s[16:17] op_sel_hi:[1,0]
	v_pk_fma_f32 v[20:21], v[46:47], 0.5, v[20:21] op_sel_hi:[1,0,1] neg_lo:[1,0,0] neg_hi:[1,0,0]
	v_pk_mul_f32 v[32:33], v[32:33], s[14:15] op_sel_hi:[1,0]
	v_pk_mul_f32 v[28:29], v[28:29], s[16:17] op_sel_hi:[1,0]
	v_pk_add_f32 v[8:9], v[8:9], v[26:27]
	v_pk_add_f32 v[26:27], v[24:25], v[30:31] op_sel:[0,1] op_sel_hi:[1,0]
	v_pk_add_f32 v[24:25], v[24:25], v[30:31] op_sel:[0,1] op_sel_hi:[1,0] neg_lo:[0,1] neg_hi:[0,1]
	v_pk_add_f32 v[30:31], v[20:21], v[32:33] op_sel:[0,1] op_sel_hi:[1,0] neg_lo:[0,1] neg_hi:[0,1]
	v_pk_add_f32 v[20:21], v[20:21], v[32:33] op_sel:[0,1] op_sel_hi:[1,0]
	v_pk_add_f32 v[24:25], v[24:25], v[48:49] op_sel:[0,1] op_sel_hi:[1,0] neg_lo:[0,1] neg_hi:[0,1]
	v_pk_add_f32 v[26:27], v[26:27], v[48:49] op_sel:[0,1] op_sel_hi:[1,0]
	;; [unrolled: 2-line block ×3, first 2 shown]
	v_pk_add_f32 v[34:35], v[34:35], v[44:45]
	v_pk_add_f32 v[22:23], v[22:23], v[42:43]
	v_mov_b32_e32 v30, v26
	v_mov_b32_e32 v31, v25
	;; [unrolled: 1-line block ×6, first 2 shown]
	v_pk_fma_f32 v[26:27], v[34:35], s[0:1], v[30:31] op_sel_hi:[1,0,1]
	v_pk_fma_f32 v[28:29], v[22:23], s[0:1], v[32:33] op_sel_hi:[1,0,1]
	v_pk_fma_f32 v[20:21], v[22:23], s[0:1], v[20:21] op_sel_hi:[1,0,1]
	v_pk_fma_f32 v[22:23], v[34:35], s[0:1], v[24:25] op_sel_hi:[1,0,1]
	ds_write2_b64 v68, v[8:9], v[26:27] offset1:35
	ds_write2_b64 v68, v[28:29], v[20:21] offset0:70 offset1:105
	ds_write_b64 v68, v[22:23] offset:1120
	s_waitcnt lgkmcnt(0)
	s_barrier
	global_load_dwordx4 v[24:27], v50, s[10:11] offset:1344
	global_load_dwordx4 v[20:23], v50, s[10:11] offset:1360
	ds_read2_b64 v[28:31], v36 offset1:175
	ds_read2_b64 v[32:35], v37 offset0:30 offset1:205
	ds_read_b64 v[8:9], v36 offset:5600
	s_waitcnt vmcnt(1) lgkmcnt(2)
	v_pk_mul_f32 v[42:43], v[30:31], v[24:25] op_sel:[0,1]
	v_mov_b32_e32 v44, v27
	s_waitcnt vmcnt(0) lgkmcnt(1)
	v_pk_mul_f32 v[46:47], v[34:35], v[20:21] op_sel:[0,1]
	v_mov_b32_e32 v48, v23
	v_pk_fma_f32 v[50:51], v[30:31], v[24:25], v[42:43] op_sel:[0,0,1] op_sel_hi:[1,1,0] neg_lo:[0,0,1] neg_hi:[0,0,1]
	v_pk_fma_f32 v[30:31], v[30:31], v[24:25], v[42:43] op_sel:[0,0,1] op_sel_hi:[1,0,0]
	v_pk_mul_f32 v[42:43], v[32:33], v[44:45] op_sel_hi:[1,0]
	v_pk_fma_f32 v[44:45], v[34:35], v[20:21], v[46:47] op_sel:[0,0,1] op_sel_hi:[1,1,0] neg_lo:[0,0,1] neg_hi:[0,0,1]
	v_pk_fma_f32 v[34:35], v[34:35], v[20:21], v[46:47] op_sel:[0,0,1] op_sel_hi:[1,0,0]
	s_waitcnt lgkmcnt(0)
	v_pk_mul_f32 v[46:47], v[8:9], v[48:49] op_sel_hi:[1,0]
	v_mov_b32_e32 v51, v31
	v_pk_fma_f32 v[30:31], v[32:33], v[26:27], v[42:43] op_sel:[0,0,1] op_sel_hi:[1,1,0] neg_lo:[0,0,1] neg_hi:[0,0,1]
	v_pk_fma_f32 v[32:33], v[32:33], v[26:27], v[42:43] op_sel:[0,0,1] op_sel_hi:[1,0,0]
	v_mov_b32_e32 v45, v35
	v_pk_fma_f32 v[34:35], v[8:9], v[22:23], v[46:47] op_sel:[0,0,1] op_sel_hi:[1,1,0] neg_lo:[0,0,1] neg_hi:[0,0,1]
	v_pk_fma_f32 v[8:9], v[8:9], v[22:23], v[46:47] op_sel:[0,0,1] op_sel_hi:[1,0,0]
	v_mov_b32_e32 v31, v33
	v_mov_b32_e32 v35, v9
	v_pk_add_f32 v[8:9], v[28:29], v[50:51]
	v_pk_add_f32 v[32:33], v[30:31], v[44:45]
	;; [unrolled: 1-line block ×3, first 2 shown]
	v_pk_add_f32 v[48:49], v[50:51], v[30:31] neg_lo:[0,1] neg_hi:[0,1]
	v_pk_add_f32 v[52:53], v[34:35], v[44:45] neg_lo:[0,1] neg_hi:[0,1]
	v_pk_add_f32 v[54:55], v[50:51], v[34:35]
	v_pk_add_f32 v[42:43], v[50:51], v[34:35] neg_lo:[0,1] neg_hi:[0,1]
	v_pk_add_f32 v[46:47], v[30:31], v[44:45] neg_lo:[0,1] neg_hi:[0,1]
	v_pk_add_f32 v[30:31], v[30:31], v[50:51] neg_lo:[0,1] neg_hi:[0,1]
	v_pk_add_f32 v[50:51], v[44:45], v[34:35] neg_lo:[0,1] neg_hi:[0,1]
	v_pk_add_f32 v[8:9], v[8:9], v[44:45]
	v_pk_fma_f32 v[32:33], v[32:33], 0.5, v[28:29] op_sel_hi:[1,0,1] neg_lo:[1,0,0] neg_hi:[1,0,0]
	v_pk_add_f32 v[44:45], v[48:49], v[52:53]
	v_pk_fma_f32 v[48:49], v[54:55], 0.5, v[28:29] op_sel_hi:[1,0,1] neg_lo:[1,0,0] neg_hi:[1,0,0]
	v_pk_add_f32 v[50:51], v[30:31], v[50:51]
	v_pk_add_f32 v[28:29], v[8:9], v[34:35]
	v_pk_fma_f32 v[8:9], v[42:43], s[14:15], v[32:33] op_sel:[1,0,0] op_sel_hi:[0,0,1]
	v_pk_fma_f32 v[30:31], v[42:43], s[14:15], v[32:33] op_sel:[1,0,0] op_sel_hi:[0,0,1] neg_lo:[1,0,0] neg_hi:[1,0,0]
	v_pk_fma_f32 v[32:33], v[46:47], s[14:15], v[48:49] op_sel:[1,0,0] op_sel_hi:[0,0,1] neg_lo:[1,0,0] neg_hi:[1,0,0]
	v_pk_fma_f32 v[34:35], v[46:47], s[14:15], v[48:49] op_sel:[1,0,0] op_sel_hi:[0,0,1]
	v_pk_fma_f32 v[48:49], v[46:47], s[16:17], v[30:31] op_sel:[1,0,0] op_sel_hi:[0,0,1] neg_lo:[1,0,0] neg_hi:[1,0,0]
	v_pk_fma_f32 v[8:9], v[46:47], s[16:17], v[8:9] op_sel:[1,0,0] op_sel_hi:[0,0,1]
	;; [unrolled: 2-line block ×3, first 2 shown]
	v_mov_b32_e32 v32, v8
	v_mov_b32_e32 v33, v49
	;; [unrolled: 1-line block ×6, first 2 shown]
	v_pk_fma_f32 v[30:31], v[44:45], s[0:1], v[32:33] op_sel_hi:[1,0,1]
	v_pk_fma_f32 v[8:9], v[44:45], s[0:1], v[48:49] op_sel_hi:[1,0,1]
	;; [unrolled: 1-line block ×4, first 2 shown]
	ds_write2_b64 v36, v[28:29], v[30:31] offset1:175
	ds_write2_b64 v37, v[32:33], v[34:35] offset0:30 offset1:205
	ds_write_b64 v36, v[8:9] offset:5600
	s_waitcnt lgkmcnt(0)
	s_barrier
	s_and_saveexec_b64 s[0:1], s[2:3]
	s_cbranch_execz .LBB0_9
; %bb.8:
	v_mov_b32_e32 v37, 0
	v_lshl_add_u64 v[42:43], s[8:9], 0, v[36:37]
	v_add_co_u32_e32 v44, vcc, 0x1000, v42
	s_mov_b64 s[10:11], 0x1b58
	s_nop 0
	v_addc_co_u32_e32 v45, vcc, 0, v43, vcc
	global_load_dwordx2 v[44:45], v[44:45], off offset:2904
	v_lshl_add_u64 v[46:47], v[42:43], 0, s[10:11]
	s_movk_i32 s10, 0x2000
	global_load_dwordx2 v[54:55], v[46:47], off offset:1000
	global_load_dwordx2 v[56:57], v[46:47], off offset:2000
	;; [unrolled: 1-line block ×4, first 2 shown]
	v_add_co_u32_e32 v46, vcc, s10, v42
	v_add_u32_e32 v69, 0x1000, v36
	s_nop 0
	v_addc_co_u32_e32 v47, vcc, 0, v43, vcc
	v_add_co_u32_e32 v42, vcc, 0x3000, v42
	global_load_dwordx2 v[62:63], v[46:47], off offset:3808
	s_nop 0
	v_addc_co_u32_e32 v43, vcc, 0, v43, vcc
	global_load_dwordx2 v[64:65], v[42:43], off offset:712
	ds_read_b64 v[42:43], v36
	s_waitcnt vmcnt(6) lgkmcnt(0)
	v_mul_f32_e32 v37, v43, v45
	v_mul_f32_e32 v47, v42, v45
	v_fma_f32 v46, v42, v44, -v37
	v_fmac_f32_e32 v47, v43, v44
	ds_write_b64 v36, v[46:47]
	ds_read2_b64 v[42:45], v36 offset0:125 offset1:250
	v_add_u32_e32 v37, 0x800, v36
	ds_read2_b64 v[46:49], v37 offset0:119 offset1:244
	ds_read2_b64 v[50:53], v69 offset0:113 offset1:238
	s_waitcnt vmcnt(5) lgkmcnt(2)
	v_mul_f32_e32 v70, v43, v55
	v_mul_f32_e32 v71, v42, v55
	s_waitcnt vmcnt(4)
	v_mul_f32_e32 v72, v45, v57
	v_mul_f32_e32 v55, v44, v57
	s_waitcnt vmcnt(3) lgkmcnt(1)
	v_mul_f32_e32 v73, v47, v59
	v_mul_f32_e32 v57, v46, v59
	s_waitcnt vmcnt(2)
	v_mul_f32_e32 v74, v49, v61
	v_mul_f32_e32 v59, v48, v61
	;; [unrolled: 6-line block ×3, first 2 shown]
	v_fma_f32 v70, v42, v54, -v70
	v_fmac_f32_e32 v71, v43, v54
	v_fma_f32 v54, v44, v56, -v72
	v_fmac_f32_e32 v55, v45, v56
	;; [unrolled: 2-line block ×6, first 2 shown]
	ds_write2_b64 v36, v[70:71], v[54:55] offset0:125 offset1:250
	ds_write2_b64 v37, v[56:57], v[58:59] offset0:119 offset1:244
	;; [unrolled: 1-line block ×3, first 2 shown]
.LBB0_9:
	s_or_b64 exec, exec, s[0:1]
	s_waitcnt lgkmcnt(0)
	s_barrier
	s_and_saveexec_b64 s[0:1], s[2:3]
	s_cbranch_execz .LBB0_11
; %bb.10:
	v_add_u32_e32 v8, 0x400, v36
	ds_read2_b64 v[32:35], v8 offset0:122 offset1:247
	v_add_u32_e32 v8, 0xc00, v36
	ds_read2_b64 v[28:31], v36 offset1:125
	ds_read2_b64 v[8:11], v8 offset0:116 offset1:241
	ds_read_b64 v[40:41], v36 offset:6000
.LBB0_11:
	s_or_b64 exec, exec, s[0:1]
	v_mov_b32_e32 v64, v4
	v_mov_b32_e32 v65, v4
	;; [unrolled: 1-line block ×36, first 2 shown]
	s_waitcnt lgkmcnt(0)
	s_barrier
	s_and_saveexec_b64 s[0:1], s[2:3]
	s_cbranch_execz .LBB0_13
; %bb.12:
	v_pk_add_f32 v[70:71], v[40:41], v[30:31]
	v_pk_add_f32 v[74:75], v[10:11], v[32:33]
	;; [unrolled: 1-line block ×4, first 2 shown]
	s_mov_b32 s10, 0x3f4a47b2
	v_pk_add_f32 v[76:77], v[72:73], v[76:77]
	v_mov_b32_e32 v80, v72
	s_mov_b32 s11, 0x3d64c772
	v_mov_b32_e32 v82, v72
	v_mov_b32_e32 v83, v71
	;; [unrolled: 1-line block ×6, first 2 shown]
	v_pk_add_f32 v[72:73], v[82:83], v[72:73] neg_lo:[0,1] neg_hi:[0,1]
	s_mov_b32 s14, s11
	s_mov_b32 s15, s10
	v_pk_add_f32 v[78:79], v[78:79], v[80:81] neg_lo:[0,1] neg_hi:[0,1]
	v_pk_mul_f32 v[72:73], v[72:73], s[14:15]
	v_pk_mul_f32 v[80:81], v[78:79], s[10:11]
	v_pk_fma_f32 v[78:79], v[78:79], s[10:11], v[72:73]
	v_pk_add_f32 v[30:31], v[30:31], v[40:41] neg_lo:[0,1] neg_hi:[0,1]
	v_pk_add_f32 v[8:9], v[8:9], v[34:35] neg_lo:[0,1] neg_hi:[0,1]
	;; [unrolled: 1-line block ×3, first 2 shown]
	s_mov_b32 s10, 0xbeae86e6
	s_mov_b32 s11, 0x3f08b237
	v_mov_b32_e32 v40, v9
	v_mov_b32_e32 v41, v30
	;; [unrolled: 1-line block ×8, first 2 shown]
	v_pk_add_f32 v[40:41], v[40:41], v[82:83] neg_lo:[0,1] neg_hi:[0,1]
	s_mov_b32 s14, s11
	s_mov_b32 s15, s10
	v_pk_add_f32 v[32:33], v[32:33], v[34:35] neg_lo:[0,1] neg_hi:[0,1]
	v_pk_mul_f32 v[40:41], v[40:41], s[14:15]
	v_pk_add_f32 v[8:9], v[8:9], v[10:11]
	v_pk_add_f32 v[28:29], v[28:29], v[76:77]
	v_pk_mul_f32 v[34:35], v[32:33], s[10:11]
	v_pk_fma_f32 v[32:33], v[32:33], s[10:11], v[40:41]
	v_pk_add_f32 v[8:9], v[8:9], v[30:31]
	s_mov_b32 s10, 0xbee1c552
	s_mov_b32 s14, 0xbf955555
	v_pk_mul_f32 v[82:83], v[8:9], s[10:11] op_sel_hi:[1,0]
	v_pk_fma_f32 v[76:77], v[76:77], s[14:15], v[28:29] op_sel_hi:[1,0,1]
	v_pk_add_f32 v[32:33], v[82:83], v[32:33] op_sel:[1,0] op_sel_hi:[0,1]
	v_pk_add_f32 v[78:79], v[78:79], v[76:77]
	v_lshlrev_b32_e32 v37, 3, v67
	v_pk_add_f32 v[82:83], v[78:79], v[32:33]
	v_pk_add_f32 v[32:33], v[78:79], v[32:33] neg_lo:[0,1] neg_hi:[0,1]
	v_mov_b32_e32 v78, v82
	v_mov_b32_e32 v79, v33
	v_pk_add_f32 v[10:11], v[10:11], v[30:31] neg_lo:[0,1] neg_hi:[0,1]
	s_mov_b32 s16, 0xbf5ff5aa
	v_mov_b32_e32 v30, v41
	v_mov_b32_e32 v31, v34
	;; [unrolled: 1-line block ×4, first 2 shown]
	ds_write2_b64 v37, v[28:29], v[78:79] offset1:1
	v_pk_add_f32 v[28:29], v[74:75], v[70:71] neg_lo:[0,1] neg_hi:[0,1]
	s_mov_b32 s14, 0x3f3bfb3b
	v_mov_b32_e32 v70, v80
	v_mov_b32_e32 v71, v73
	v_pk_fma_f32 v[30:31], v[10:11], s[16:17], v[30:31] op_sel_hi:[1,0,1] neg_lo:[1,0,1] neg_hi:[1,0,1]
	v_pk_fma_f32 v[10:11], v[10:11], s[16:17], v[34:35] op_sel_hi:[1,0,1] neg_lo:[0,0,1] neg_hi:[0,0,1]
	v_mov_b32_e32 v73, v81
	v_pk_fma_f32 v[70:71], v[28:29], s[14:15], v[70:71] op_sel_hi:[1,0,1] neg_lo:[1,0,1] neg_hi:[1,0,1]
	v_pk_fma_f32 v[30:31], v[8:9], s[10:11], v[30:31] op_sel_hi:[1,0,1]
	v_pk_fma_f32 v[8:9], v[8:9], s[10:11], v[10:11] op_sel_hi:[1,0,1]
	v_pk_fma_f32 v[10:11], v[28:29], s[14:15], v[72:73] op_sel_hi:[1,0,1] neg_lo:[0,0,1] neg_hi:[0,0,1]
	v_pk_add_f32 v[70:71], v[70:71], v[76:77]
	v_pk_add_f32 v[10:11], v[10:11], v[76:77]
	v_pk_add_f32 v[74:75], v[70:71], v[30:31] op_sel:[0,1] op_sel_hi:[1,0]
	v_pk_add_f32 v[30:31], v[70:71], v[30:31] op_sel:[0,1] op_sel_hi:[1,0] neg_lo:[0,1] neg_hi:[0,1]
	v_pk_add_f32 v[28:29], v[10:11], v[8:9] op_sel:[0,1] op_sel_hi:[1,0] neg_lo:[0,1] neg_hi:[0,1]
	v_pk_add_f32 v[8:9], v[10:11], v[8:9] op_sel:[0,1] op_sel_hi:[1,0]
	v_mov_b32_e32 v10, v74
	v_mov_b32_e32 v11, v31
	;; [unrolled: 1-line block ×7, first 2 shown]
	ds_write2_b64 v37, v[10:11], v[34:35] offset0:2 offset1:3
	ds_write2_b64 v37, v[8:9], v[30:31] offset0:4 offset1:5
	ds_write_b64 v37, v[32:33] offset:48
.LBB0_13:
	s_or_b64 exec, exec, s[0:1]
	s_waitcnt lgkmcnt(0)
	s_barrier
	ds_read2_b64 v[8:11], v36 offset1:175
	v_add_u32_e32 v37, 0xa00, v36
	ds_read2_b64 v[28:31], v37 offset0:30 offset1:205
	ds_read_b64 v[32:33], v36 offset:5600
	s_mov_b32 s10, 0x3f737871
	s_mov_b32 s14, 0x3f167918
	s_waitcnt lgkmcnt(2)
	v_pk_mul_f32 v[4:5], v[4:5], v[10:11]
	s_waitcnt lgkmcnt(1)
	v_pk_mul_f32 v[0:1], v[0:1], v[30:31]
	v_pk_fma_f32 v[34:35], v[64:65], v[10:11], v[4:5] op_sel:[0,0,1] op_sel_hi:[1,1,0]
	v_pk_fma_f32 v[4:5], v[64:65], v[10:11], v[4:5] op_sel:[0,0,1] op_sel_hi:[1,1,0] neg_lo:[0,0,1] neg_hi:[0,0,1]
	s_mov_b32 s0, 0x3e9e377a
	v_mov_b32_e32 v35, v5
	v_pk_mul_f32 v[4:5], v[6:7], v[28:29]
	s_waitcnt lgkmcnt(0)
	v_pk_fma_f32 v[6:7], v[62:63], v[28:29], v[4:5] op_sel:[0,0,1] op_sel_hi:[1,1,0]
	v_pk_fma_f32 v[4:5], v[62:63], v[28:29], v[4:5] op_sel:[0,0,1] op_sel_hi:[1,1,0] neg_lo:[0,0,1] neg_hi:[0,0,1]
	s_barrier
	v_mov_b32_e32 v7, v5
	v_pk_fma_f32 v[4:5], v[60:61], v[30:31], v[0:1] op_sel:[0,0,1] op_sel_hi:[1,1,0]
	v_pk_fma_f32 v[0:1], v[60:61], v[30:31], v[0:1] op_sel:[0,0,1] op_sel_hi:[1,1,0] neg_lo:[0,0,1] neg_hi:[0,0,1]
	s_nop 0
	v_mov_b32_e32 v5, v1
	v_pk_mul_f32 v[0:1], v[2:3], v[32:33]
	v_pk_add_f32 v[10:11], v[6:7], v[4:5]
	v_pk_fma_f32 v[2:3], v[58:59], v[32:33], v[0:1] op_sel:[0,0,1] op_sel_hi:[1,1,0]
	v_pk_fma_f32 v[0:1], v[58:59], v[32:33], v[0:1] op_sel:[0,0,1] op_sel_hi:[1,1,0] neg_lo:[0,0,1] neg_hi:[0,0,1]
	v_pk_fma_f32 v[10:11], v[10:11], 0.5, v[8:9] op_sel_hi:[1,0,1] neg_lo:[1,0,0] neg_hi:[1,0,0]
	v_mov_b32_e32 v3, v1
	v_pk_add_f32 v[28:29], v[34:35], v[2:3] neg_lo:[0,1] neg_hi:[0,1]
	v_pk_add_f32 v[32:33], v[6:7], v[4:5] neg_lo:[0,1] neg_hi:[0,1]
	v_pk_mul_f32 v[30:31], v[28:29], s[10:11] op_sel_hi:[1,0]
	v_pk_add_f32 v[58:59], v[34:35], v[6:7] neg_lo:[0,1] neg_hi:[0,1]
	v_pk_add_f32 v[60:61], v[2:3], v[4:5] neg_lo:[0,1] neg_hi:[0,1]
	v_pk_add_f32 v[0:1], v[8:9], v[34:35]
	v_pk_mul_f32 v[40:41], v[32:33], s[14:15] op_sel_hi:[1,0]
	v_pk_add_f32 v[58:59], v[58:59], v[60:61]
	v_pk_add_f32 v[60:61], v[10:11], v[30:31] op_sel:[0,1] op_sel_hi:[1,0] neg_lo:[0,1] neg_hi:[0,1]
	v_pk_add_f32 v[10:11], v[10:11], v[30:31] op_sel:[0,1] op_sel_hi:[1,0]
	v_pk_add_f32 v[0:1], v[0:1], v[6:7]
	v_pk_add_f32 v[10:11], v[10:11], v[40:41] op_sel:[0,1] op_sel_hi:[1,0]
	v_pk_add_f32 v[30:31], v[60:61], v[40:41] op_sel:[0,1] op_sel_hi:[1,0] neg_lo:[0,1] neg_hi:[0,1]
	v_pk_add_f32 v[0:1], v[0:1], v[4:5]
	v_mov_b32_e32 v40, v30
	v_mov_b32_e32 v41, v11
	v_pk_add_f32 v[0:1], v[0:1], v[2:3]
	v_pk_fma_f32 v[40:41], v[58:59], s[0:1], v[40:41] op_sel_hi:[1,0,1]
	ds_write2_b64 v66, v[0:1], v[40:41] offset1:7
	v_pk_add_f32 v[0:1], v[34:35], v[2:3]
	v_pk_add_f32 v[6:7], v[6:7], v[34:35] neg_lo:[0,1] neg_hi:[0,1]
	v_pk_fma_f32 v[0:1], v[0:1], 0.5, v[8:9] op_sel_hi:[1,0,1] neg_lo:[1,0,0] neg_hi:[1,0,0]
	v_pk_add_f32 v[2:3], v[4:5], v[2:3] neg_lo:[0,1] neg_hi:[0,1]
	v_pk_mul_f32 v[4:5], v[32:33], s[10:11] op_sel_hi:[1,0]
	v_pk_add_f32 v[2:3], v[6:7], v[2:3]
	v_pk_mul_f32 v[6:7], v[28:29], s[14:15] op_sel_hi:[1,0]
	v_pk_add_f32 v[8:9], v[0:1], v[4:5] op_sel:[0,1] op_sel_hi:[1,0]
	v_pk_add_f32 v[0:1], v[0:1], v[4:5] op_sel:[0,1] op_sel_hi:[1,0] neg_lo:[0,1] neg_hi:[0,1]
	v_pk_add_f32 v[4:5], v[8:9], v[6:7] op_sel:[0,1] op_sel_hi:[1,0] neg_lo:[0,1] neg_hi:[0,1]
	v_pk_add_f32 v[0:1], v[0:1], v[6:7] op_sel:[0,1] op_sel_hi:[1,0]
	v_mov_b32_e32 v6, v4
	v_mov_b32_e32 v7, v1
	;; [unrolled: 1-line block ×3, first 2 shown]
	v_pk_fma_f32 v[6:7], v[2:3], s[0:1], v[6:7] op_sel_hi:[1,0,1]
	v_pk_fma_f32 v[0:1], v[2:3], s[0:1], v[0:1] op_sel_hi:[1,0,1]
	v_mov_b32_e32 v11, v31
	ds_write2_b64 v66, v[6:7], v[0:1] offset0:14 offset1:21
	v_pk_fma_f32 v[0:1], v[58:59], s[0:1], v[10:11] op_sel_hi:[1,0,1]
	ds_write_b64 v66, v[0:1] offset:224
	s_waitcnt lgkmcnt(0)
	s_barrier
	ds_read2_b64 v[0:3], v36 offset1:175
	ds_read2_b64 v[4:7], v37 offset0:30 offset1:205
	ds_read_b64 v[8:9], v36 offset:5600
	s_waitcnt lgkmcnt(0)
	s_barrier
	v_pk_mul_f32 v[10:11], v[16:17], v[2:3]
	s_nop 0
	v_pk_fma_f32 v[16:17], v[56:57], v[2:3], v[10:11] op_sel:[0,0,1] op_sel_hi:[1,1,0]
	v_pk_fma_f32 v[2:3], v[56:57], v[2:3], v[10:11] op_sel:[0,0,1] op_sel_hi:[1,1,0] neg_lo:[0,0,1] neg_hi:[0,0,1]
	s_nop 0
	v_mov_b32_e32 v17, v3
	v_pk_mul_f32 v[2:3], v[18:19], v[4:5]
	s_nop 0
	v_pk_fma_f32 v[10:11], v[54:55], v[4:5], v[2:3] op_sel:[0,0,1] op_sel_hi:[1,1,0]
	v_pk_fma_f32 v[2:3], v[54:55], v[4:5], v[2:3] op_sel:[0,0,1] op_sel_hi:[1,1,0] neg_lo:[0,0,1] neg_hi:[0,0,1]
	s_nop 0
	v_mov_b32_e32 v11, v3
	v_pk_mul_f32 v[2:3], v[12:13], v[6:7]
	v_pk_add_f32 v[30:31], v[16:17], v[10:11] neg_lo:[0,1] neg_hi:[0,1]
	v_pk_fma_f32 v[4:5], v[52:53], v[6:7], v[2:3] op_sel:[0,0,1] op_sel_hi:[1,1,0]
	v_pk_fma_f32 v[2:3], v[52:53], v[6:7], v[2:3] op_sel:[0,0,1] op_sel_hi:[1,1,0] neg_lo:[0,0,1] neg_hi:[0,0,1]
	s_nop 0
	v_mov_b32_e32 v5, v3
	v_pk_mul_f32 v[2:3], v[14:15], v[8:9]
	v_pk_add_f32 v[18:19], v[10:11], v[4:5] neg_lo:[0,1] neg_hi:[0,1]
	v_pk_fma_f32 v[6:7], v[50:51], v[8:9], v[2:3] op_sel:[0,0,1] op_sel_hi:[1,1,0]
	v_pk_fma_f32 v[2:3], v[50:51], v[8:9], v[2:3] op_sel:[0,0,1] op_sel_hi:[1,1,0] neg_lo:[0,0,1] neg_hi:[0,0,1]
	v_pk_add_f32 v[8:9], v[10:11], v[4:5]
	v_mov_b32_e32 v7, v3
	v_pk_add_f32 v[12:13], v[16:17], v[6:7] neg_lo:[0,1] neg_hi:[0,1]
	v_pk_fma_f32 v[8:9], v[8:9], 0.5, v[0:1] op_sel_hi:[1,0,1] neg_lo:[1,0,0] neg_hi:[1,0,0]
	v_pk_mul_f32 v[14:15], v[12:13], s[10:11] op_sel_hi:[1,0]
	v_pk_add_f32 v[32:33], v[6:7], v[4:5] neg_lo:[0,1] neg_hi:[0,1]
	v_pk_add_f32 v[2:3], v[0:1], v[16:17]
	v_pk_mul_f32 v[28:29], v[18:19], s[14:15] op_sel_hi:[1,0]
	v_pk_add_f32 v[30:31], v[30:31], v[32:33]
	v_pk_add_f32 v[32:33], v[8:9], v[14:15] op_sel:[0,1] op_sel_hi:[1,0] neg_lo:[0,1] neg_hi:[0,1]
	v_pk_add_f32 v[8:9], v[8:9], v[14:15] op_sel:[0,1] op_sel_hi:[1,0]
	v_pk_add_f32 v[2:3], v[2:3], v[10:11]
	v_pk_add_f32 v[8:9], v[8:9], v[28:29] op_sel:[0,1] op_sel_hi:[1,0]
	v_pk_add_f32 v[14:15], v[32:33], v[28:29] op_sel:[0,1] op_sel_hi:[1,0] neg_lo:[0,1] neg_hi:[0,1]
	v_pk_add_f32 v[2:3], v[2:3], v[4:5]
	v_mov_b32_e32 v28, v14
	v_mov_b32_e32 v29, v9
	v_pk_add_f32 v[2:3], v[2:3], v[6:7]
	v_pk_fma_f32 v[28:29], v[30:31], s[0:1], v[28:29] op_sel_hi:[1,0,1]
	ds_write2_b64 v68, v[2:3], v[28:29] offset1:35
	v_pk_add_f32 v[2:3], v[16:17], v[6:7]
	v_pk_add_f32 v[4:5], v[4:5], v[6:7] neg_lo:[0,1] neg_hi:[0,1]
	v_pk_fma_f32 v[0:1], v[2:3], 0.5, v[0:1] op_sel_hi:[1,0,1] neg_lo:[1,0,0] neg_hi:[1,0,0]
	v_pk_add_f32 v[2:3], v[10:11], v[16:17] neg_lo:[0,1] neg_hi:[0,1]
	v_pk_mul_f32 v[6:7], v[12:13], s[14:15] op_sel_hi:[1,0]
	v_pk_add_f32 v[2:3], v[2:3], v[4:5]
	v_pk_mul_f32 v[4:5], v[18:19], s[10:11] op_sel_hi:[1,0]
	v_mov_b32_e32 v9, v15
	v_pk_add_f32 v[10:11], v[0:1], v[4:5] op_sel:[0,1] op_sel_hi:[1,0]
	v_pk_add_f32 v[0:1], v[0:1], v[4:5] op_sel:[0,1] op_sel_hi:[1,0] neg_lo:[0,1] neg_hi:[0,1]
	v_pk_add_f32 v[4:5], v[10:11], v[6:7] op_sel:[0,1] op_sel_hi:[1,0] neg_lo:[0,1] neg_hi:[0,1]
	v_pk_add_f32 v[0:1], v[0:1], v[6:7] op_sel:[0,1] op_sel_hi:[1,0]
	v_mov_b32_e32 v6, v4
	v_mov_b32_e32 v7, v1
	;; [unrolled: 1-line block ×3, first 2 shown]
	v_pk_fma_f32 v[6:7], v[2:3], s[0:1], v[6:7] op_sel_hi:[1,0,1]
	v_pk_fma_f32 v[0:1], v[2:3], s[0:1], v[0:1] op_sel_hi:[1,0,1]
	ds_write2_b64 v68, v[6:7], v[0:1] offset0:70 offset1:105
	v_pk_fma_f32 v[0:1], v[30:31], s[0:1], v[8:9] op_sel_hi:[1,0,1]
	ds_write_b64 v68, v[0:1] offset:1120
	s_waitcnt lgkmcnt(0)
	s_barrier
	ds_read2_b64 v[0:3], v36 offset1:175
	ds_read2_b64 v[4:7], v37 offset0:30 offset1:205
	ds_read_b64 v[8:9], v36 offset:5600
	s_waitcnt lgkmcnt(2)
	v_pk_mul_f32 v[10:11], v[24:25], v[2:3]
	s_nop 0
	v_pk_fma_f32 v[12:13], v[48:49], v[2:3], v[10:11] op_sel:[0,0,1] op_sel_hi:[1,1,0]
	v_pk_fma_f32 v[2:3], v[48:49], v[2:3], v[10:11] op_sel:[0,0,1] op_sel_hi:[1,1,0] neg_lo:[0,0,1] neg_hi:[0,0,1]
	s_nop 0
	v_mov_b32_e32 v13, v3
	s_waitcnt lgkmcnt(1)
	v_pk_mul_f32 v[2:3], v[26:27], v[4:5]
	s_nop 0
	v_pk_fma_f32 v[10:11], v[46:47], v[4:5], v[2:3] op_sel:[0,0,1] op_sel_hi:[1,1,0]
	v_pk_fma_f32 v[2:3], v[46:47], v[4:5], v[2:3] op_sel:[0,0,1] op_sel_hi:[1,1,0] neg_lo:[0,0,1] neg_hi:[0,0,1]
	s_nop 0
	v_mov_b32_e32 v11, v3
	v_pk_mul_f32 v[2:3], v[20:21], v[6:7]
	s_nop 0
	v_pk_fma_f32 v[4:5], v[44:45], v[6:7], v[2:3] op_sel:[0,0,1] op_sel_hi:[1,1,0]
	v_pk_fma_f32 v[2:3], v[44:45], v[6:7], v[2:3] op_sel:[0,0,1] op_sel_hi:[1,1,0] neg_lo:[0,0,1] neg_hi:[0,0,1]
	s_nop 0
	v_mov_b32_e32 v5, v3
	s_waitcnt lgkmcnt(0)
	v_pk_mul_f32 v[2:3], v[22:23], v[8:9]
	v_pk_add_f32 v[18:19], v[10:11], v[4:5] neg_lo:[0,1] neg_hi:[0,1]
	v_pk_fma_f32 v[6:7], v[42:43], v[8:9], v[2:3] op_sel:[0,0,1] op_sel_hi:[1,1,0]
	v_pk_fma_f32 v[2:3], v[42:43], v[8:9], v[2:3] op_sel:[0,0,1] op_sel_hi:[1,1,0] neg_lo:[0,0,1] neg_hi:[0,0,1]
	v_pk_add_f32 v[8:9], v[10:11], v[4:5]
	v_mov_b32_e32 v7, v3
	v_pk_add_f32 v[14:15], v[12:13], v[6:7] neg_lo:[0,1] neg_hi:[0,1]
	v_pk_fma_f32 v[8:9], v[8:9], 0.5, v[0:1] op_sel_hi:[1,0,1] neg_lo:[1,0,0] neg_hi:[1,0,0]
	v_pk_mul_f32 v[16:17], v[14:15], s[10:11] op_sel_hi:[1,0]
	v_pk_add_f32 v[22:23], v[12:13], v[10:11] neg_lo:[0,1] neg_hi:[0,1]
	v_pk_add_f32 v[24:25], v[6:7], v[4:5] neg_lo:[0,1] neg_hi:[0,1]
	v_pk_add_f32 v[2:3], v[0:1], v[12:13]
	v_pk_mul_f32 v[20:21], v[18:19], s[14:15] op_sel_hi:[1,0]
	v_pk_add_f32 v[22:23], v[22:23], v[24:25]
	v_pk_add_f32 v[24:25], v[8:9], v[16:17] op_sel:[0,1] op_sel_hi:[1,0] neg_lo:[0,1] neg_hi:[0,1]
	v_pk_add_f32 v[8:9], v[8:9], v[16:17] op_sel:[0,1] op_sel_hi:[1,0]
	v_pk_add_f32 v[2:3], v[2:3], v[10:11]
	v_pk_add_f32 v[8:9], v[8:9], v[20:21] op_sel:[0,1] op_sel_hi:[1,0]
	v_pk_add_f32 v[16:17], v[24:25], v[20:21] op_sel:[0,1] op_sel_hi:[1,0] neg_lo:[0,1] neg_hi:[0,1]
	v_pk_add_f32 v[2:3], v[2:3], v[4:5]
	v_mov_b32_e32 v20, v16
	v_mov_b32_e32 v21, v9
	v_pk_add_f32 v[2:3], v[2:3], v[6:7]
	v_pk_fma_f32 v[20:21], v[22:23], s[0:1], v[20:21] op_sel_hi:[1,0,1]
	ds_write2_b64 v36, v[2:3], v[20:21] offset1:175
	v_pk_add_f32 v[2:3], v[12:13], v[6:7]
	v_pk_add_f32 v[4:5], v[4:5], v[6:7] neg_lo:[0,1] neg_hi:[0,1]
	v_pk_fma_f32 v[0:1], v[2:3], 0.5, v[0:1] op_sel_hi:[1,0,1] neg_lo:[1,0,0] neg_hi:[1,0,0]
	v_pk_add_f32 v[2:3], v[10:11], v[12:13] neg_lo:[0,1] neg_hi:[0,1]
	v_pk_mul_f32 v[6:7], v[14:15], s[14:15] op_sel_hi:[1,0]
	v_pk_add_f32 v[2:3], v[2:3], v[4:5]
	v_pk_mul_f32 v[4:5], v[18:19], s[10:11] op_sel_hi:[1,0]
	v_mov_b32_e32 v9, v17
	v_pk_add_f32 v[10:11], v[0:1], v[4:5] op_sel:[0,1] op_sel_hi:[1,0]
	v_pk_add_f32 v[0:1], v[0:1], v[4:5] op_sel:[0,1] op_sel_hi:[1,0] neg_lo:[0,1] neg_hi:[0,1]
	v_pk_add_f32 v[4:5], v[10:11], v[6:7] op_sel:[0,1] op_sel_hi:[1,0] neg_lo:[0,1] neg_hi:[0,1]
	v_pk_add_f32 v[0:1], v[0:1], v[6:7] op_sel:[0,1] op_sel_hi:[1,0]
	v_mov_b32_e32 v6, v4
	v_mov_b32_e32 v7, v1
	;; [unrolled: 1-line block ×3, first 2 shown]
	v_pk_fma_f32 v[6:7], v[2:3], s[0:1], v[6:7] op_sel_hi:[1,0,1]
	v_pk_fma_f32 v[0:1], v[2:3], s[0:1], v[0:1] op_sel_hi:[1,0,1]
	ds_write2_b64 v37, v[6:7], v[0:1] offset0:30 offset1:205
	v_pk_fma_f32 v[0:1], v[22:23], s[0:1], v[8:9] op_sel_hi:[1,0,1]
	ds_write_b64 v36, v[0:1] offset:5600
	s_waitcnt lgkmcnt(0)
	s_barrier
	s_and_b64 exec, exec, s[2:3]
	s_cbranch_execz .LBB0_15
; %bb.14:
	global_load_dwordx2 v[8:9], v36, s[8:9]
	global_load_dwordx2 v[10:11], v36, s[8:9] offset:1000
	global_load_dwordx2 v[12:13], v36, s[8:9] offset:2000
	;; [unrolled: 1-line block ×3, first 2 shown]
	ds_read_b64 v[16:17], v36
	global_load_dwordx2 v[22:23], v36, s[8:9] offset:4000
	v_mov_b32_e32 v37, 0
	v_mad_u64_u32 v[24:25], s[2:3], s4, v39, 0
	s_movk_i32 s2, 0x1000
	v_lshl_add_u64 v[4:5], s[8:9], 0, v[36:37]
	v_add_co_u32_e32 v30, vcc, s2, v4
	v_mad_u64_u32 v[20:21], s[0:1], s6, v38, 0
	s_nop 0
	v_addc_co_u32_e32 v31, vcc, 0, v5, vcc
	global_load_dwordx2 v[32:33], v[30:31], off offset:904
	v_mov_b32_e32 v26, v21
	v_mad_u64_u32 v[26:27], s[2:3], s7, v38, v[26:27]
	v_mov_b32_e32 v21, v26
	global_load_dwordx2 v[26:27], v[30:31], off offset:1904
	ds_read2_b64 v[0:3], v36 offset0:125 offset1:250
	v_add_u32_e32 v6, 0x800, v36
	ds_read2_b64 v[4:7], v6 offset0:119 offset1:244
	v_mov_b32_e32 v28, v25
	v_mov_b32_e32 v18, s12
	;; [unrolled: 1-line block ×3, first 2 shown]
	v_mad_u64_u32 v[28:29], s[2:3], s5, v39, v[28:29]
	v_mov_b32_e32 v25, v28
	v_lshl_add_u64 v[18:19], v[20:21], 3, v[18:19]
	s_mov_b32 s0, 0x835d548e
	v_mov_b32_e32 v34, 0x3e8
	v_lshl_add_u64 v[18:19], v[24:25], 3, v[18:19]
	s_mov_b32 s1, 0x3f52b97d
	s_mul_i32 s6, s5, 0x3e8
	v_mad_u64_u32 v[20:21], s[2:3], s4, v34, v[18:19]
	v_add_u32_e32 v21, s6, v21
	v_mad_u64_u32 v[24:25], s[2:3], s4, v34, v[20:21]
	v_add_u32_e32 v25, s6, v25
	s_waitcnt vmcnt(6) lgkmcnt(2)
	v_mul_f32_e32 v28, v17, v9
	v_mul_f32_e32 v9, v16, v9
	s_waitcnt vmcnt(5) lgkmcnt(1)
	v_mul_f32_e32 v29, v1, v11
	v_mul_f32_e32 v11, v0, v11
	s_waitcnt vmcnt(4)
	v_mul_f32_e32 v30, v3, v13
	v_mul_f32_e32 v13, v2, v13
	v_fmac_f32_e32 v28, v16, v8
	v_fma_f32 v8, v8, v17, -v9
	s_waitcnt vmcnt(3) lgkmcnt(0)
	v_mul_f32_e32 v31, v5, v15
	v_mul_f32_e32 v15, v4, v15
	v_fmac_f32_e32 v29, v0, v10
	v_fma_f32 v9, v10, v1, -v11
	v_fmac_f32_e32 v30, v2, v12
	v_fma_f32 v12, v12, v3, -v13
	v_cvt_f64_f32_e32 v[0:1], v28
	v_cvt_f64_f32_e32 v[2:3], v8
	v_fmac_f32_e32 v31, v4, v14
	v_fma_f32 v16, v14, v5, -v15
	v_cvt_f64_f32_e32 v[4:5], v29
	v_cvt_f64_f32_e32 v[8:9], v9
	;; [unrolled: 1-line block ×4, first 2 shown]
	v_mul_f64 v[0:1], v[0:1], s[0:1]
	v_mul_f64 v[2:3], v[2:3], s[0:1]
	;; [unrolled: 1-line block ×6, first 2 shown]
	v_cvt_f32_f64_e32 v0, v[0:1]
	v_cvt_f32_f64_e32 v1, v[2:3]
	;; [unrolled: 1-line block ×6, first 2 shown]
	global_store_dwordx2 v[18:19], v[0:1], off
	global_store_dwordx2 v[20:21], v[2:3], off
	global_store_dwordx2 v[24:25], v[4:5], off
	s_waitcnt vmcnt(5)
	v_mul_f32_e32 v0, v7, v23
	v_cvt_f64_f32_e32 v[14:15], v31
	v_cvt_f64_f32_e32 v[16:17], v16
	v_fmac_f32_e32 v0, v6, v22
	v_mul_f64 v[14:15], v[14:15], s[0:1]
	v_mul_f64 v[16:17], v[16:17], s[0:1]
	v_mad_u64_u32 v[4:5], s[2:3], s4, v34, v[24:25]
	v_cvt_f64_f32_e32 v[0:1], v0
	v_cvt_f32_f64_e32 v8, v[14:15]
	v_cvt_f32_f64_e32 v9, v[16:17]
	v_add_u32_e32 v5, s6, v5
	v_mul_f64 v[0:1], v[0:1], s[0:1]
	global_store_dwordx2 v[4:5], v[8:9], off
	v_cvt_f32_f64_e32 v8, v[0:1]
	v_mul_f32_e32 v0, v6, v23
	v_fma_f32 v0, v22, v7, -v0
	v_cvt_f64_f32_e32 v[0:1], v0
	v_mul_f64 v[0:1], v[0:1], s[0:1]
	v_cvt_f32_f64_e32 v9, v[0:1]
	v_add_u32_e32 v0, 0x1000, v36
	ds_read2_b64 v[0:3], v0 offset0:113 offset1:238
	v_mad_u64_u32 v[4:5], s[2:3], s4, v34, v[4:5]
	v_add_u32_e32 v5, s6, v5
	global_store_dwordx2 v[4:5], v[8:9], off
	s_waitcnt vmcnt(6) lgkmcnt(0)
	v_mul_f32_e32 v6, v1, v33
	v_fmac_f32_e32 v6, v0, v32
	v_mul_f32_e32 v0, v0, v33
	v_fma_f32 v0, v32, v1, -v0
	v_cvt_f64_f32_e32 v[6:7], v6
	v_cvt_f64_f32_e32 v[0:1], v0
	v_mul_f64 v[6:7], v[6:7], s[0:1]
	v_mul_f64 v[0:1], v[0:1], s[0:1]
	v_cvt_f32_f64_e32 v6, v[6:7]
	v_cvt_f32_f64_e32 v7, v[0:1]
	v_mad_u64_u32 v[0:1], s[2:3], s4, v34, v[4:5]
	s_waitcnt vmcnt(5)
	v_mul_f32_e32 v4, v3, v27
	v_fmac_f32_e32 v4, v2, v26
	v_mul_f32_e32 v2, v2, v27
	v_fma_f32 v2, v26, v3, -v2
	v_add_u32_e32 v1, s6, v1
	v_cvt_f64_f32_e32 v[4:5], v4
	v_cvt_f64_f32_e32 v[2:3], v2
	global_store_dwordx2 v[0:1], v[6:7], off
	v_mul_f64 v[4:5], v[4:5], s[0:1]
	v_mul_f64 v[2:3], v[2:3], s[0:1]
	v_mad_u64_u32 v[0:1], s[0:1], s4, v34, v[0:1]
	v_cvt_f32_f64_e32 v4, v[4:5]
	v_cvt_f32_f64_e32 v5, v[2:3]
	v_add_u32_e32 v1, s6, v1
	global_store_dwordx2 v[0:1], v[4:5], off
.LBB0_15:
	s_endpgm
	.section	.rodata,"a",@progbits
	.p2align	6, 0x0
	.amdhsa_kernel bluestein_single_fwd_len875_dim1_sp_op_CI_CI
		.amdhsa_group_segment_fixed_size 7000
		.amdhsa_private_segment_fixed_size 0
		.amdhsa_kernarg_size 104
		.amdhsa_user_sgpr_count 2
		.amdhsa_user_sgpr_dispatch_ptr 0
		.amdhsa_user_sgpr_queue_ptr 0
		.amdhsa_user_sgpr_kernarg_segment_ptr 1
		.amdhsa_user_sgpr_dispatch_id 0
		.amdhsa_user_sgpr_kernarg_preload_length 0
		.amdhsa_user_sgpr_kernarg_preload_offset 0
		.amdhsa_user_sgpr_private_segment_size 0
		.amdhsa_uses_dynamic_stack 0
		.amdhsa_enable_private_segment 0
		.amdhsa_system_sgpr_workgroup_id_x 1
		.amdhsa_system_sgpr_workgroup_id_y 0
		.amdhsa_system_sgpr_workgroup_id_z 0
		.amdhsa_system_sgpr_workgroup_info 0
		.amdhsa_system_vgpr_workitem_id 0
		.amdhsa_next_free_vgpr 84
		.amdhsa_next_free_sgpr 22
		.amdhsa_accum_offset 84
		.amdhsa_reserve_vcc 1
		.amdhsa_float_round_mode_32 0
		.amdhsa_float_round_mode_16_64 0
		.amdhsa_float_denorm_mode_32 3
		.amdhsa_float_denorm_mode_16_64 3
		.amdhsa_dx10_clamp 1
		.amdhsa_ieee_mode 1
		.amdhsa_fp16_overflow 0
		.amdhsa_tg_split 0
		.amdhsa_exception_fp_ieee_invalid_op 0
		.amdhsa_exception_fp_denorm_src 0
		.amdhsa_exception_fp_ieee_div_zero 0
		.amdhsa_exception_fp_ieee_overflow 0
		.amdhsa_exception_fp_ieee_underflow 0
		.amdhsa_exception_fp_ieee_inexact 0
		.amdhsa_exception_int_div_zero 0
	.end_amdhsa_kernel
	.text
.Lfunc_end0:
	.size	bluestein_single_fwd_len875_dim1_sp_op_CI_CI, .Lfunc_end0-bluestein_single_fwd_len875_dim1_sp_op_CI_CI
                                        ; -- End function
	.section	.AMDGPU.csdata,"",@progbits
; Kernel info:
; codeLenInByte = 6292
; NumSgprs: 28
; NumVgprs: 84
; NumAgprs: 0
; TotalNumVgprs: 84
; ScratchSize: 0
; MemoryBound: 0
; FloatMode: 240
; IeeeMode: 1
; LDSByteSize: 7000 bytes/workgroup (compile time only)
; SGPRBlocks: 3
; VGPRBlocks: 10
; NumSGPRsForWavesPerEU: 28
; NumVGPRsForWavesPerEU: 84
; AccumOffset: 84
; Occupancy: 5
; WaveLimiterHint : 1
; COMPUTE_PGM_RSRC2:SCRATCH_EN: 0
; COMPUTE_PGM_RSRC2:USER_SGPR: 2
; COMPUTE_PGM_RSRC2:TRAP_HANDLER: 0
; COMPUTE_PGM_RSRC2:TGID_X_EN: 1
; COMPUTE_PGM_RSRC2:TGID_Y_EN: 0
; COMPUTE_PGM_RSRC2:TGID_Z_EN: 0
; COMPUTE_PGM_RSRC2:TIDIG_COMP_CNT: 0
; COMPUTE_PGM_RSRC3_GFX90A:ACCUM_OFFSET: 20
; COMPUTE_PGM_RSRC3_GFX90A:TG_SPLIT: 0
	.text
	.p2alignl 6, 3212836864
	.fill 256, 4, 3212836864
	.type	__hip_cuid_c638c8b413a3db7b,@object ; @__hip_cuid_c638c8b413a3db7b
	.section	.bss,"aw",@nobits
	.globl	__hip_cuid_c638c8b413a3db7b
__hip_cuid_c638c8b413a3db7b:
	.byte	0                               ; 0x0
	.size	__hip_cuid_c638c8b413a3db7b, 1

	.ident	"AMD clang version 19.0.0git (https://github.com/RadeonOpenCompute/llvm-project roc-6.4.0 25133 c7fe45cf4b819c5991fe208aaa96edf142730f1d)"
	.section	".note.GNU-stack","",@progbits
	.addrsig
	.addrsig_sym __hip_cuid_c638c8b413a3db7b
	.amdgpu_metadata
---
amdhsa.kernels:
  - .agpr_count:     0
    .args:
      - .actual_access:  read_only
        .address_space:  global
        .offset:         0
        .size:           8
        .value_kind:     global_buffer
      - .actual_access:  read_only
        .address_space:  global
        .offset:         8
        .size:           8
        .value_kind:     global_buffer
      - .actual_access:  read_only
        .address_space:  global
        .offset:         16
        .size:           8
        .value_kind:     global_buffer
      - .actual_access:  read_only
        .address_space:  global
        .offset:         24
        .size:           8
        .value_kind:     global_buffer
      - .actual_access:  read_only
        .address_space:  global
        .offset:         32
        .size:           8
        .value_kind:     global_buffer
      - .offset:         40
        .size:           8
        .value_kind:     by_value
      - .address_space:  global
        .offset:         48
        .size:           8
        .value_kind:     global_buffer
      - .address_space:  global
        .offset:         56
        .size:           8
        .value_kind:     global_buffer
      - .address_space:  global
        .offset:         64
        .size:           8
        .value_kind:     global_buffer
      - .address_space:  global
        .offset:         72
        .size:           8
        .value_kind:     global_buffer
      - .offset:         80
        .size:           4
        .value_kind:     by_value
      - .address_space:  global
        .offset:         88
        .size:           8
        .value_kind:     global_buffer
      - .address_space:  global
        .offset:         96
        .size:           8
        .value_kind:     global_buffer
    .group_segment_fixed_size: 7000
    .kernarg_segment_align: 8
    .kernarg_segment_size: 104
    .language:       OpenCL C
    .language_version:
      - 2
      - 0
    .max_flat_workgroup_size: 175
    .name:           bluestein_single_fwd_len875_dim1_sp_op_CI_CI
    .private_segment_fixed_size: 0
    .sgpr_count:     28
    .sgpr_spill_count: 0
    .symbol:         bluestein_single_fwd_len875_dim1_sp_op_CI_CI.kd
    .uniform_work_group_size: 1
    .uses_dynamic_stack: false
    .vgpr_count:     84
    .vgpr_spill_count: 0
    .wavefront_size: 64
amdhsa.target:   amdgcn-amd-amdhsa--gfx950
amdhsa.version:
  - 1
  - 2
...

	.end_amdgpu_metadata
